;; amdgpu-corpus repo=ROCm/rocFFT kind=compiled arch=gfx906 opt=O3
	.text
	.amdgcn_target "amdgcn-amd-amdhsa--gfx906"
	.amdhsa_code_object_version 6
	.protected	fft_rtc_fwd_len286_factors_13_11_2_wgs_52_tpt_26_sp_ip_CI_unitstride_sbrr_C2R_dirReg ; -- Begin function fft_rtc_fwd_len286_factors_13_11_2_wgs_52_tpt_26_sp_ip_CI_unitstride_sbrr_C2R_dirReg
	.globl	fft_rtc_fwd_len286_factors_13_11_2_wgs_52_tpt_26_sp_ip_CI_unitstride_sbrr_C2R_dirReg
	.p2align	8
	.type	fft_rtc_fwd_len286_factors_13_11_2_wgs_52_tpt_26_sp_ip_CI_unitstride_sbrr_C2R_dirReg,@function
fft_rtc_fwd_len286_factors_13_11_2_wgs_52_tpt_26_sp_ip_CI_unitstride_sbrr_C2R_dirReg: ; @fft_rtc_fwd_len286_factors_13_11_2_wgs_52_tpt_26_sp_ip_CI_unitstride_sbrr_C2R_dirReg
; %bb.0:
	s_load_dwordx2 s[12:13], s[4:5], 0x50
	s_load_dwordx4 s[8:11], s[4:5], 0x0
	s_load_dwordx2 s[2:3], s[4:5], 0x18
	v_mul_u32_u24_e32 v1, 0x9d9, v0
	v_lshrrev_b32_e32 v9, 16, v1
	v_mov_b32_e32 v3, 0
	s_waitcnt lgkmcnt(0)
	v_cmp_lt_u64_e64 s[0:1], s[10:11], 2
	v_mov_b32_e32 v1, 0
	v_lshl_add_u32 v5, s6, 1, v9
	v_mov_b32_e32 v6, v3
	s_and_b64 vcc, exec, s[0:1]
	v_mov_b32_e32 v2, 0
	s_cbranch_vccnz .LBB0_8
; %bb.1:
	s_load_dwordx2 s[0:1], s[4:5], 0x10
	s_add_u32 s6, s2, 8
	s_addc_u32 s7, s3, 0
	v_mov_b32_e32 v1, 0
	v_mov_b32_e32 v2, 0
	s_waitcnt lgkmcnt(0)
	s_add_u32 s14, s0, 8
	s_addc_u32 s15, s1, 0
	s_mov_b64 s[16:17], 1
.LBB0_2:                                ; =>This Inner Loop Header: Depth=1
	s_load_dwordx2 s[18:19], s[14:15], 0x0
                                        ; implicit-def: $vgpr7_vgpr8
	s_waitcnt lgkmcnt(0)
	v_or_b32_e32 v4, s19, v6
	v_cmp_ne_u64_e32 vcc, 0, v[3:4]
	s_and_saveexec_b64 s[0:1], vcc
	s_xor_b64 s[20:21], exec, s[0:1]
	s_cbranch_execz .LBB0_4
; %bb.3:                                ;   in Loop: Header=BB0_2 Depth=1
	v_cvt_f32_u32_e32 v4, s18
	v_cvt_f32_u32_e32 v7, s19
	s_sub_u32 s0, 0, s18
	s_subb_u32 s1, 0, s19
	v_mac_f32_e32 v4, 0x4f800000, v7
	v_rcp_f32_e32 v4, v4
	v_mul_f32_e32 v4, 0x5f7ffffc, v4
	v_mul_f32_e32 v7, 0x2f800000, v4
	v_trunc_f32_e32 v7, v7
	v_mac_f32_e32 v4, 0xcf800000, v7
	v_cvt_u32_f32_e32 v7, v7
	v_cvt_u32_f32_e32 v4, v4
	v_mul_lo_u32 v8, s0, v7
	v_mul_hi_u32 v10, s0, v4
	v_mul_lo_u32 v12, s1, v4
	v_mul_lo_u32 v11, s0, v4
	v_add_u32_e32 v8, v10, v8
	v_add_u32_e32 v8, v8, v12
	v_mul_hi_u32 v10, v4, v11
	v_mul_lo_u32 v12, v4, v8
	v_mul_hi_u32 v14, v4, v8
	v_mul_hi_u32 v13, v7, v11
	v_mul_lo_u32 v11, v7, v11
	v_mul_hi_u32 v15, v7, v8
	v_add_co_u32_e32 v10, vcc, v10, v12
	v_addc_co_u32_e32 v12, vcc, 0, v14, vcc
	v_mul_lo_u32 v8, v7, v8
	v_add_co_u32_e32 v10, vcc, v10, v11
	v_addc_co_u32_e32 v10, vcc, v12, v13, vcc
	v_addc_co_u32_e32 v11, vcc, 0, v15, vcc
	v_add_co_u32_e32 v8, vcc, v10, v8
	v_addc_co_u32_e32 v10, vcc, 0, v11, vcc
	v_add_co_u32_e32 v4, vcc, v4, v8
	v_addc_co_u32_e32 v7, vcc, v7, v10, vcc
	v_mul_lo_u32 v8, s0, v7
	v_mul_hi_u32 v10, s0, v4
	v_mul_lo_u32 v11, s1, v4
	v_mul_lo_u32 v12, s0, v4
	v_add_u32_e32 v8, v10, v8
	v_add_u32_e32 v8, v8, v11
	v_mul_lo_u32 v13, v4, v8
	v_mul_hi_u32 v14, v4, v12
	v_mul_hi_u32 v15, v4, v8
	;; [unrolled: 1-line block ×3, first 2 shown]
	v_mul_lo_u32 v12, v7, v12
	v_mul_hi_u32 v10, v7, v8
	v_add_co_u32_e32 v13, vcc, v14, v13
	v_addc_co_u32_e32 v14, vcc, 0, v15, vcc
	v_mul_lo_u32 v8, v7, v8
	v_add_co_u32_e32 v12, vcc, v13, v12
	v_addc_co_u32_e32 v11, vcc, v14, v11, vcc
	v_addc_co_u32_e32 v10, vcc, 0, v10, vcc
	v_add_co_u32_e32 v8, vcc, v11, v8
	v_addc_co_u32_e32 v10, vcc, 0, v10, vcc
	v_add_co_u32_e32 v4, vcc, v4, v8
	v_addc_co_u32_e32 v10, vcc, v7, v10, vcc
	v_mad_u64_u32 v[7:8], s[0:1], v5, v10, 0
	v_mul_hi_u32 v11, v5, v4
	v_add_co_u32_e32 v12, vcc, v11, v7
	v_addc_co_u32_e32 v13, vcc, 0, v8, vcc
	v_mad_u64_u32 v[7:8], s[0:1], v6, v4, 0
	v_mad_u64_u32 v[10:11], s[0:1], v6, v10, 0
	v_add_co_u32_e32 v4, vcc, v12, v7
	v_addc_co_u32_e32 v4, vcc, v13, v8, vcc
	v_addc_co_u32_e32 v7, vcc, 0, v11, vcc
	v_add_co_u32_e32 v4, vcc, v4, v10
	v_addc_co_u32_e32 v10, vcc, 0, v7, vcc
	v_mul_lo_u32 v11, s19, v4
	v_mul_lo_u32 v12, s18, v10
	v_mad_u64_u32 v[7:8], s[0:1], s18, v4, 0
	v_add3_u32 v8, v8, v12, v11
	v_sub_u32_e32 v11, v6, v8
	v_mov_b32_e32 v12, s19
	v_sub_co_u32_e32 v7, vcc, v5, v7
	v_subb_co_u32_e64 v11, s[0:1], v11, v12, vcc
	v_subrev_co_u32_e64 v12, s[0:1], s18, v7
	v_subbrev_co_u32_e64 v11, s[0:1], 0, v11, s[0:1]
	v_cmp_le_u32_e64 s[0:1], s19, v11
	v_cndmask_b32_e64 v13, 0, -1, s[0:1]
	v_cmp_le_u32_e64 s[0:1], s18, v12
	v_cndmask_b32_e64 v12, 0, -1, s[0:1]
	v_cmp_eq_u32_e64 s[0:1], s19, v11
	v_cndmask_b32_e64 v11, v13, v12, s[0:1]
	v_add_co_u32_e64 v12, s[0:1], 2, v4
	v_addc_co_u32_e64 v13, s[0:1], 0, v10, s[0:1]
	v_add_co_u32_e64 v14, s[0:1], 1, v4
	v_addc_co_u32_e64 v15, s[0:1], 0, v10, s[0:1]
	v_subb_co_u32_e32 v8, vcc, v6, v8, vcc
	v_cmp_ne_u32_e64 s[0:1], 0, v11
	v_cmp_le_u32_e32 vcc, s19, v8
	v_cndmask_b32_e64 v11, v15, v13, s[0:1]
	v_cndmask_b32_e64 v13, 0, -1, vcc
	v_cmp_le_u32_e32 vcc, s18, v7
	v_cndmask_b32_e64 v7, 0, -1, vcc
	v_cmp_eq_u32_e32 vcc, s19, v8
	v_cndmask_b32_e32 v7, v13, v7, vcc
	v_cmp_ne_u32_e32 vcc, 0, v7
	v_cndmask_b32_e64 v7, v14, v12, s[0:1]
	v_cndmask_b32_e32 v8, v10, v11, vcc
	v_cndmask_b32_e32 v7, v4, v7, vcc
.LBB0_4:                                ;   in Loop: Header=BB0_2 Depth=1
	s_andn2_saveexec_b64 s[0:1], s[20:21]
	s_cbranch_execz .LBB0_6
; %bb.5:                                ;   in Loop: Header=BB0_2 Depth=1
	v_cvt_f32_u32_e32 v4, s18
	s_sub_i32 s20, 0, s18
	v_rcp_iflag_f32_e32 v4, v4
	v_mul_f32_e32 v4, 0x4f7ffffe, v4
	v_cvt_u32_f32_e32 v4, v4
	v_mul_lo_u32 v7, s20, v4
	v_mul_hi_u32 v7, v4, v7
	v_add_u32_e32 v4, v4, v7
	v_mul_hi_u32 v4, v5, v4
	v_mul_lo_u32 v7, v4, s18
	v_add_u32_e32 v8, 1, v4
	v_sub_u32_e32 v7, v5, v7
	v_subrev_u32_e32 v10, s18, v7
	v_cmp_le_u32_e32 vcc, s18, v7
	v_cndmask_b32_e32 v7, v7, v10, vcc
	v_cndmask_b32_e32 v4, v4, v8, vcc
	v_add_u32_e32 v8, 1, v4
	v_cmp_le_u32_e32 vcc, s18, v7
	v_cndmask_b32_e32 v7, v4, v8, vcc
	v_mov_b32_e32 v8, v3
.LBB0_6:                                ;   in Loop: Header=BB0_2 Depth=1
	s_or_b64 exec, exec, s[0:1]
	v_mul_lo_u32 v4, v8, s18
	v_mul_lo_u32 v12, v7, s19
	v_mad_u64_u32 v[10:11], s[0:1], v7, s18, 0
	s_load_dwordx2 s[0:1], s[6:7], 0x0
	s_add_u32 s16, s16, 1
	v_add3_u32 v4, v11, v12, v4
	v_sub_co_u32_e32 v5, vcc, v5, v10
	v_subb_co_u32_e32 v4, vcc, v6, v4, vcc
	s_waitcnt lgkmcnt(0)
	v_mul_lo_u32 v4, s0, v4
	v_mul_lo_u32 v6, s1, v5
	v_mad_u64_u32 v[1:2], s[0:1], s0, v5, v[1:2]
	s_addc_u32 s17, s17, 0
	s_add_u32 s6, s6, 8
	v_add3_u32 v2, v6, v2, v4
	v_mov_b32_e32 v4, s10
	v_mov_b32_e32 v5, s11
	s_addc_u32 s7, s7, 0
	v_cmp_ge_u64_e32 vcc, s[16:17], v[4:5]
	s_add_u32 s14, s14, 8
	s_addc_u32 s15, s15, 0
	s_cbranch_vccnz .LBB0_9
; %bb.7:                                ;   in Loop: Header=BB0_2 Depth=1
	v_mov_b32_e32 v5, v7
	v_mov_b32_e32 v6, v8
	s_branch .LBB0_2
.LBB0_8:
	v_mov_b32_e32 v8, v6
	v_mov_b32_e32 v7, v5
.LBB0_9:
	s_lshl_b64 s[0:1], s[10:11], 3
	s_add_u32 s0, s2, s0
	s_addc_u32 s1, s3, s1
	s_load_dwordx2 s[2:3], s[0:1], 0x0
	s_load_dwordx2 s[6:7], s[4:5], 0x20
	v_mov_b32_e32 v6, 0x11f
	s_waitcnt lgkmcnt(0)
	v_mul_lo_u32 v4, s2, v8
	v_mul_lo_u32 v5, s3, v7
	v_mad_u64_u32 v[2:3], s[0:1], s2, v7, v[1:2]
	s_mov_b32 s0, 0x9d89d8a
	v_and_b32_e32 v1, 1, v9
	v_add3_u32 v3, v5, v3, v4
	v_mul_hi_u32 v4, v0, s0
	v_cmp_eq_u32_e32 vcc, 1, v1
	v_cndmask_b32_e32 v6, 0, v6, vcc
	v_cmp_gt_u64_e32 vcc, s[6:7], v[7:8]
	v_mul_u32_u24_e32 v1, 26, v4
	v_sub_u32_e32 v0, v0, v1
	v_lshlrev_b64 v[30:31], 3, v[2:3]
	v_mov_b32_e32 v1, 0
	v_lshlrev_b32_e32 v37, 3, v6
	v_mov_b32_e32 v28, v0
	s_and_saveexec_b64 s[2:3], vcc
	s_cbranch_execz .LBB0_13
; %bb.10:
	v_mov_b32_e32 v3, s13
	v_add_co_u32_e64 v2, s[0:1], s12, v30
	v_lshlrev_b64 v[4:5], 3, v[0:1]
	v_addc_co_u32_e64 v3, s[0:1], v3, v31, s[0:1]
	v_add_co_u32_e64 v4, s[0:1], v2, v4
	v_addc_co_u32_e64 v5, s[0:1], v3, v5, s[0:1]
	global_load_dwordx2 v[8:9], v[4:5], off
	global_load_dwordx2 v[10:11], v[4:5], off offset:208
	global_load_dwordx2 v[12:13], v[4:5], off offset:416
	;; [unrolled: 1-line block ×10, first 2 shown]
	v_lshlrev_b32_e32 v4, 3, v0
	v_add3_u32 v7, 0, v37, v4
	v_mov_b32_e32 v5, v1
	v_cmp_eq_u32_e64 s[0:1], 25, v0
	v_mov_b32_e32 v4, v0
	s_waitcnt vmcnt(9)
	ds_write2_b64 v7, v[8:9], v[10:11] offset1:26
	s_waitcnt vmcnt(7)
	ds_write2_b64 v7, v[12:13], v[14:15] offset0:52 offset1:78
	s_waitcnt vmcnt(5)
	ds_write2_b64 v7, v[16:17], v[18:19] offset0:104 offset1:130
	;; [unrolled: 2-line block ×4, first 2 shown]
	s_waitcnt vmcnt(0)
	ds_write_b64 v7, v[28:29] offset:2080
	s_and_saveexec_b64 s[4:5], s[0:1]
	s_cbranch_execz .LBB0_12
; %bb.11:
	global_load_dwordx2 v[0:1], v[2:3], off offset:2288
	v_mov_b32_e32 v4, 25
	v_mov_b32_e32 v5, 0
	s_waitcnt vmcnt(0)
	ds_write_b64 v7, v[0:1] offset:2088
	v_mov_b32_e32 v0, 25
.LBB0_12:
	s_or_b64 exec, exec, s[4:5]
	v_mov_b32_e32 v28, v0
	v_mov_b32_e32 v0, v4
	;; [unrolled: 1-line block ×3, first 2 shown]
.LBB0_13:
	s_or_b64 exec, exec, s[2:3]
	v_lshl_add_u32 v36, v6, 3, 0
	v_lshlrev_b32_e32 v2, 3, v28
	v_add_u32_e32 v38, v36, v2
	s_waitcnt lgkmcnt(0)
	; wave barrier
	s_waitcnt lgkmcnt(0)
	v_sub_u32_e32 v4, v36, v2
	ds_read_b32 v3, v38
	ds_read_b32 v5, v4 offset:2288
	v_lshlrev_b64 v[32:33], 3, v[0:1]
	v_cmp_ne_u32_e64 s[0:1], 0, v28
	s_waitcnt lgkmcnt(0)
	v_add_f32_e32 v2, v5, v3
	v_sub_f32_e32 v3, v3, v5
	s_and_saveexec_b64 s[2:3], s[0:1]
	s_xor_b64 s[2:3], exec, s[2:3]
	s_cbranch_execz .LBB0_15
; %bb.14:
	v_mov_b32_e32 v1, s9
	v_add_co_u32_e64 v0, s[0:1], s8, v32
	v_addc_co_u32_e64 v1, s[0:1], v1, v33, s[0:1]
	global_load_dwordx2 v[0:1], v[0:1], off offset:2184
	ds_read_b32 v5, v4 offset:2292
	ds_read_b32 v7, v38 offset:4
	s_waitcnt lgkmcnt(0)
	v_add_f32_e32 v11, v5, v7
	v_sub_f32_e32 v5, v7, v5
	s_waitcnt vmcnt(0)
	v_fma_f32 v7, v3, v1, v2
	v_fma_f32 v8, v11, v1, v5
	v_fma_f32 v9, -v3, v1, v2
	v_fma_f32 v10, v11, v1, -v5
	v_fma_f32 v7, -v0, v11, v7
	v_fmac_f32_e32 v8, v3, v0
	v_fmac_f32_e32 v9, v0, v11
	;; [unrolled: 1-line block ×3, first 2 shown]
	ds_write_b64 v38, v[7:8]
	ds_write_b64 v4, v[9:10] offset:2288
                                        ; implicit-def: $vgpr2
.LBB0_15:
	s_andn2_saveexec_b64 s[0:1], s[2:3]
	s_cbranch_execz .LBB0_17
; %bb.16:
	ds_write_b64 v38, v[2:3]
	ds_read_b64 v[0:1], v36 offset:1144
	s_waitcnt lgkmcnt(0)
	v_add_f32_e32 v0, v0, v0
	v_mul_f32_e32 v1, -2.0, v1
	ds_write_b64 v36, v[0:1] offset:1144
.LBB0_17:
	s_or_b64 exec, exec, s[0:1]
	v_mov_b32_e32 v29, 0
	s_add_u32 s0, s8, 0x888
	v_lshlrev_b64 v[34:35], 3, v[28:29]
	s_addc_u32 s1, s9, 0
	v_mov_b32_e32 v1, s1
	v_add_co_u32_e64 v0, s[0:1], s0, v34
	v_addc_co_u32_e64 v1, s[0:1], v1, v35, s[0:1]
	global_load_dwordx2 v[2:3], v[0:1], off offset:208
	global_load_dwordx2 v[7:8], v[0:1], off offset:416
	;; [unrolled: 1-line block ×4, first 2 shown]
	ds_read_b64 v[13:14], v38 offset:208
	ds_read_b64 v[15:16], v4 offset:2080
	v_cmp_gt_u32_e64 s[0:1], 13, v28
	s_waitcnt lgkmcnt(0)
	v_add_f32_e32 v5, v13, v15
	v_add_f32_e32 v17, v16, v14
	v_sub_f32_e32 v18, v13, v15
	v_sub_f32_e32 v15, v14, v16
	s_waitcnt vmcnt(3)
	v_fma_f32 v19, v18, v3, v5
	v_fma_f32 v16, v17, v3, v15
	v_fma_f32 v13, -v18, v3, v5
	v_fma_f32 v14, v17, v3, -v15
	v_fma_f32 v15, -v2, v17, v19
	v_fmac_f32_e32 v16, v18, v2
	v_fmac_f32_e32 v13, v2, v17
	v_fmac_f32_e32 v14, v18, v2
	ds_write_b64 v38, v[15:16] offset:208
	ds_write_b64 v4, v[13:14] offset:2080
	ds_read_b64 v[2:3], v38 offset:416
	ds_read_b64 v[13:14], v4 offset:1872
	s_waitcnt lgkmcnt(0)
	v_add_f32_e32 v5, v2, v13
	v_add_f32_e32 v15, v14, v3
	v_sub_f32_e32 v16, v2, v13
	v_sub_f32_e32 v13, v3, v14
	s_waitcnt vmcnt(2)
	v_fma_f32 v17, v16, v8, v5
	v_fma_f32 v14, v15, v8, v13
	v_fma_f32 v2, -v16, v8, v5
	v_fma_f32 v3, v15, v8, -v13
	v_fma_f32 v13, -v7, v15, v17
	v_fmac_f32_e32 v14, v16, v7
	v_fmac_f32_e32 v2, v7, v15
	v_fmac_f32_e32 v3, v16, v7
	ds_write_b64 v38, v[13:14] offset:416
	ds_write_b64 v4, v[2:3] offset:1872
	ds_read_b64 v[2:3], v38 offset:624
	ds_read_b64 v[7:8], v4 offset:1664
	;; [unrolled: 18-line block ×3, first 2 shown]
	s_waitcnt lgkmcnt(0)
	v_add_f32_e32 v5, v2, v7
	v_add_f32_e32 v9, v8, v3
	v_sub_f32_e32 v10, v2, v7
	v_sub_f32_e32 v2, v3, v8
	s_waitcnt vmcnt(0)
	v_fma_f32 v13, v10, v12, v5
	v_fma_f32 v3, v9, v12, v2
	v_fma_f32 v7, -v10, v12, v5
	v_fma_f32 v8, v9, v12, -v2
	v_fma_f32 v2, -v11, v9, v13
	v_fmac_f32_e32 v3, v10, v11
	v_fmac_f32_e32 v7, v11, v9
	;; [unrolled: 1-line block ×3, first 2 shown]
	ds_write_b64 v38, v[2:3] offset:832
	ds_write_b64 v4, v[7:8] offset:1456
	s_and_saveexec_b64 s[2:3], s[0:1]
	s_cbranch_execz .LBB0_19
; %bb.18:
	global_load_dwordx2 v[0:1], v[0:1], off offset:1040
	ds_read_b64 v[2:3], v38 offset:1040
	ds_read_b64 v[7:8], v4 offset:1248
	s_waitcnt lgkmcnt(0)
	v_add_f32_e32 v5, v2, v7
	v_add_f32_e32 v9, v8, v3
	v_sub_f32_e32 v10, v2, v7
	v_sub_f32_e32 v3, v3, v8
	s_waitcnt vmcnt(0)
	v_fma_f32 v11, v10, v1, v5
	v_fma_f32 v2, v9, v1, v3
	v_fma_f32 v7, -v10, v1, v5
	v_fma_f32 v8, v9, v1, -v3
	v_fma_f32 v1, -v0, v9, v11
	v_fmac_f32_e32 v2, v10, v0
	v_fmac_f32_e32 v7, v0, v9
	v_fmac_f32_e32 v8, v10, v0
	ds_write_b64 v38, v[1:2] offset:1040
	ds_write_b64 v4, v[7:8] offset:1248
.LBB0_19:
	s_or_b64 exec, exec, s[2:3]
	v_lshl_add_u32 v40, v28, 3, 0
	v_lshl_add_u32 v29, v6, 3, v40
	s_waitcnt lgkmcnt(0)
	; wave barrier
	s_waitcnt lgkmcnt(0)
	s_waitcnt lgkmcnt(0)
	; wave barrier
	s_waitcnt lgkmcnt(0)
	ds_read2_b64 v[16:19], v29 offset0:22 offset1:44
	v_add_u32_e32 v39, 0x400, v29
	ds_read2_b64 v[4:7], v39 offset0:114 offset1:136
	ds_read_b64 v[0:1], v38
	s_mov_b32 s6, 0x3f116cb1
	s_mov_b32 s7, 0xbeb58ec6
	;; [unrolled: 1-line block ×3, first 2 shown]
	s_waitcnt lgkmcnt(1)
	v_sub_f32_e32 v53, v17, v7
	v_mul_f32_e32 v57, 0xbf52af12, v53
	v_sub_f32_e32 v54, v19, v5
	v_add_f32_e32 v41, v6, v16
	v_mov_b32_e32 v2, v57
	v_mul_f32_e32 v60, 0xbf6f5d39, v54
	v_fmac_f32_e32 v2, 0x3f116cb1, v41
	v_add_f32_e32 v42, v4, v18
	v_mov_b32_e32 v8, v60
	s_waitcnt lgkmcnt(0)
	v_add_f32_e32 v2, v0, v2
	v_fmac_f32_e32 v8, 0xbeb58ec6, v42
	v_add_f32_e32 v2, v8, v2
	ds_read2_b64 v[20:23], v29 offset0:66 offset1:88
	ds_read2_b64 v[8:11], v29 offset0:198 offset1:220
	v_sub_f32_e32 v55, v16, v6
	v_add_f32_e32 v43, v7, v17
	v_mul_f32_e32 v62, 0xbf52af12, v55
	v_sub_f32_e32 v59, v18, v4
	v_fma_f32 v3, v43, s6, -v62
	v_add_f32_e32 v45, v5, v19
	v_mul_f32_e32 v67, 0xbf6f5d39, v59
	s_waitcnt lgkmcnt(0)
	v_sub_f32_e32 v56, v21, v11
	v_add_f32_e32 v3, v1, v3
	v_fma_f32 v12, v45, s7, -v67
	v_mul_f32_e32 v64, 0xbe750f2a, v56
	v_add_f32_e32 v3, v12, v3
	v_add_f32_e32 v44, v10, v20
	v_mov_b32_e32 v12, v64
	v_sub_f32_e32 v61, v20, v10
	v_fmac_f32_e32 v12, 0xbf788fa5, v44
	v_add_f32_e32 v47, v11, v21
	v_mul_f32_e32 v71, 0xbe750f2a, v61
	v_sub_f32_e32 v58, v23, v9
	v_add_f32_e32 v2, v12, v2
	v_fma_f32 v12, v47, s10, -v71
	v_mul_f32_e32 v68, 0x3f29c268, v58
	v_add_f32_e32 v3, v12, v3
	v_add_f32_e32 v46, v8, v22
	v_mov_b32_e32 v12, v68
	v_fmac_f32_e32 v12, 0xbf3f9e67, v46
	v_add_f32_e32 v2, v12, v2
	ds_read2_b64 v[24:27], v29 offset0:110 offset1:132
	ds_read2_b64 v[12:15], v29 offset0:154 offset1:176
	v_sub_f32_e32 v66, v22, v8
	s_mov_b32 s11, 0xbf3f9e67
	v_add_f32_e32 v49, v9, v23
	v_mul_f32_e32 v73, 0x3f29c268, v66
	s_waitcnt lgkmcnt(0)
	v_sub_f32_e32 v63, v25, v15
	v_fma_f32 v48, v49, s11, -v73
	v_mul_f32_e32 v72, 0x3f7e222b, v63
	v_add_f32_e32 v3, v48, v3
	v_add_f32_e32 v48, v14, v24
	v_mov_b32_e32 v50, v72
	v_sub_f32_e32 v70, v24, v14
	v_fmac_f32_e32 v50, 0x3df6dbef, v48
	s_mov_b32 s14, 0x3df6dbef
	v_add_f32_e32 v51, v15, v25
	v_mul_f32_e32 v75, 0x3f7e222b, v70
	v_sub_f32_e32 v65, v27, v13
	v_add_f32_e32 v2, v50, v2
	v_fma_f32 v50, v51, s14, -v75
	v_mul_f32_e32 v74, 0x3eedf032, v65
	v_sub_f32_e32 v69, v26, v12
	v_add_f32_e32 v3, v50, v3
	s_mov_b32 s15, 0x3f62ad3f
	v_add_f32_e32 v50, v12, v26
	v_mov_b32_e32 v77, v74
	v_add_f32_e32 v52, v13, v27
	v_mul_f32_e32 v76, 0x3eedf032, v69
	v_fmac_f32_e32 v77, 0x3f62ad3f, v50
	v_fma_f32 v78, v52, s15, -v76
	v_add_f32_e32 v2, v77, v2
	v_add_f32_e32 v3, v78, v3
	v_cmp_gt_u32_e64 s[2:3], 22, v28
	s_waitcnt lgkmcnt(0)
	; wave barrier
	s_and_saveexec_b64 s[4:5], s[2:3]
	s_cbranch_execz .LBB0_21
; %bb.20:
	v_add_f32_e32 v17, v1, v17
	v_add_f32_e32 v16, v0, v16
	v_mul_f32_e32 v77, 0x3df6dbef, v43
	v_add_f32_e32 v17, v17, v19
	v_add_f32_e32 v16, v16, v18
	v_mov_b32_e32 v18, v77
	v_mul_f32_e32 v19, 0xbf788fa5, v45
	v_add_f32_e32 v17, v17, v21
	v_add_f32_e32 v16, v16, v20
	v_fmac_f32_e32 v18, 0x3f7e222b, v55
	v_mov_b32_e32 v78, v19
	v_add_f32_e32 v17, v17, v23
	v_add_f32_e32 v16, v16, v22
	v_mul_f32_e32 v22, 0xbf7e222b, v53
	v_add_f32_e32 v18, v1, v18
	v_fmac_f32_e32 v78, 0x3e750f2a, v59
	v_mov_b32_e32 v23, v22
	v_add_f32_e32 v17, v17, v25
	v_add_f32_e32 v16, v16, v24
	v_mul_f32_e32 v25, 0xbe750f2a, v54
	v_add_f32_e32 v18, v78, v18
	v_mul_f32_e32 v78, 0xbeb58ec6, v47
	v_fmac_f32_e32 v23, 0x3df6dbef, v41
	v_add_f32_e32 v24, v16, v26
	v_mov_b32_e32 v16, v25
	v_mov_b32_e32 v79, v78
	v_add_f32_e32 v23, v0, v23
	v_add_f32_e32 v17, v17, v27
	v_fmac_f32_e32 v16, 0xbf788fa5, v42
	v_add_f32_e32 v12, v24, v12
	v_fmac_f32_e32 v79, 0xbf6f5d39, v61
	v_add_f32_e32 v16, v16, v23
	v_mul_f32_e32 v23, 0x3f6f5d39, v56
	v_add_f32_e32 v13, v17, v13
	v_add_f32_e32 v12, v12, v14
	;; [unrolled: 1-line block ×3, first 2 shown]
	v_mul_f32_e32 v79, 0x3f62ad3f, v49
	v_mov_b32_e32 v26, v23
	v_add_f32_e32 v13, v13, v15
	v_add_f32_e32 v8, v12, v8
	v_mov_b32_e32 v80, v79
	v_mul_f32_e32 v20, 0x3f116cb1, v51
	v_fmac_f32_e32 v26, 0xbeb58ec6, v44
	v_add_f32_e32 v9, v13, v9
	v_add_f32_e32 v8, v8, v10
	v_fmac_f32_e32 v80, 0xbeedf032, v66
	v_mov_b32_e32 v21, v20
	v_add_f32_e32 v16, v26, v16
	v_mul_f32_e32 v26, 0x3eedf032, v58
	v_add_f32_e32 v9, v9, v11
	v_add_f32_e32 v4, v8, v4
	v_mul_f32_e32 v83, 0xbe750f2a, v53
	v_add_f32_e32 v18, v80, v18
	v_fmac_f32_e32 v21, 0x3f52af12, v70
	v_mov_b32_e32 v27, v26
	v_add_f32_e32 v5, v9, v5
	v_add_f32_e32 v4, v4, v6
	v_fma_f32 v6, v41, s10, -v83
	v_mul_f32_e32 v84, 0x3eedf032, v54
	v_add_f32_e32 v18, v21, v18
	v_mul_f32_e32 v21, 0xbf3f9e67, v52
	v_fmac_f32_e32 v27, 0x3f62ad3f, v46
	v_add_f32_e32 v5, v5, v7
	v_add_f32_e32 v6, v0, v6
	v_fma_f32 v7, v42, s15, -v84
	v_mul_f32_e32 v85, 0xbf29c268, v56
	v_add_f32_e32 v27, v27, v16
	v_mov_b32_e32 v16, v21
	v_mul_f32_e32 v14, 0xbf52af12, v63
	v_add_f32_e32 v6, v7, v6
	v_fma_f32 v7, v44, s11, -v85
	v_mul_f32_e32 v86, 0x3f52af12, v58
	v_fmac_f32_e32 v16, 0x3f29c268, v69
	v_mov_b32_e32 v15, v14
	v_mul_f32_e32 v17, 0xbf29c268, v65
	v_add_f32_e32 v6, v7, v6
	v_fma_f32 v7, v46, s6, -v86
	v_mul_f32_e32 v87, 0xbf6f5d39, v63
	v_add_f32_e32 v16, v16, v18
	v_fmac_f32_e32 v15, 0x3f116cb1, v48
	v_mov_b32_e32 v18, v17
	v_add_f32_e32 v6, v7, v6
	v_fma_f32 v7, v48, s7, -v87
	v_mul_f32_e32 v89, 0x3f7e222b, v65
	v_add_f32_e32 v15, v15, v27
	v_fmac_f32_e32 v18, 0xbf3f9e67, v50
	v_mul_f32_e32 v24, 0xbe750f2a, v55
	v_add_f32_e32 v6, v7, v6
	v_fma_f32 v8, v50, s14, -v89
	v_mul_f32_e32 v90, 0xbf29c268, v55
	v_add_f32_e32 v15, v18, v15
	v_mov_b32_e32 v18, v24
	v_mul_f32_e32 v27, 0x3eedf032, v59
	v_add_f32_e32 v6, v8, v6
	v_mov_b32_e32 v8, v90
	v_mul_f32_e32 v91, 0x3f7e222b, v59
	v_fmac_f32_e32 v18, 0xbf788fa5, v43
	v_mov_b32_e32 v80, v27
	v_fmac_f32_e32 v8, 0xbf3f9e67, v43
	v_mov_b32_e32 v9, v91
	v_add_f32_e32 v18, v1, v18
	v_fmac_f32_e32 v80, 0x3f62ad3f, v45
	v_add_f32_e32 v8, v1, v8
	v_fmac_f32_e32 v9, 0x3df6dbef, v45
	v_mul_f32_e32 v92, 0xbf52af12, v61
	v_add_f32_e32 v18, v80, v18
	v_mul_f32_e32 v80, 0xbf29c268, v61
	v_add_f32_e32 v8, v9, v8
	v_mov_b32_e32 v9, v92
	v_mov_b32_e32 v10, v80
	v_mul_f32_e32 v81, 0x3f52af12, v66
	v_fmac_f32_e32 v9, 0x3f116cb1, v47
	v_mul_f32_e32 v93, 0x3e750f2a, v66
	v_fmac_f32_e32 v10, 0xbf3f9e67, v47
	v_mov_b32_e32 v11, v81
	v_add_f32_e32 v8, v9, v8
	v_mov_b32_e32 v9, v93
	v_add_f32_e32 v10, v10, v18
	v_fmac_f32_e32 v11, 0x3f116cb1, v49
	v_mul_f32_e32 v82, 0xbf6f5d39, v70
	v_fmac_f32_e32 v9, 0xbf788fa5, v49
	v_mul_f32_e32 v94, 0x3eedf032, v70
	v_add_f32_e32 v10, v11, v10
	v_mov_b32_e32 v11, v82
	v_mul_f32_e32 v88, 0x3f7e222b, v69
	v_add_f32_e32 v8, v9, v8
	v_mov_b32_e32 v9, v94
	v_fmac_f32_e32 v11, 0xbeb58ec6, v51
	v_mov_b32_e32 v7, v88
	v_fmac_f32_e32 v9, 0x3f62ad3f, v51
	v_mul_f32_e32 v95, 0xbf29c268, v53
	v_add_f32_e32 v10, v11, v10
	v_fmac_f32_e32 v7, 0x3df6dbef, v52
	v_add_f32_e32 v8, v9, v8
	v_fma_f32 v9, v41, s11, -v95
	v_mul_f32_e32 v96, 0x3f7e222b, v54
	v_add_f32_e32 v7, v7, v10
	v_add_f32_e32 v9, v0, v9
	v_fma_f32 v10, v42, s14, -v96
	v_mul_f32_e32 v97, 0xbf52af12, v56
	v_add_f32_e32 v9, v10, v9
	v_fma_f32 v10, v44, s6, -v97
	v_mul_f32_e32 v98, 0x3e750f2a, v58
	;; [unrolled: 3-line block ×4, first 2 shown]
	v_add_f32_e32 v10, v10, v9
	v_mov_b32_e32 v9, v100
	v_fmac_f32_e32 v9, 0xbeb58ec6, v52
	v_mul_f32_e32 v101, 0xbf6f5d39, v65
	v_add_f32_e32 v9, v9, v8
	v_fma_f32 v8, v50, s7, -v101
	v_mul_f32_e32 v102, 0xbf6f5d39, v55
	v_add_f32_e32 v8, v8, v10
	v_mov_b32_e32 v10, v102
	v_mul_f32_e32 v103, 0x3f29c268, v59
	v_fmac_f32_e32 v10, 0xbeb58ec6, v43
	v_mov_b32_e32 v11, v103
	v_add_f32_e32 v10, v1, v10
	v_fmac_f32_e32 v11, 0xbf3f9e67, v45
	v_mul_f32_e32 v104, 0x3eedf032, v61
	v_add_f32_e32 v10, v11, v10
	v_mov_b32_e32 v11, v104
	v_fmac_f32_e32 v11, 0x3f62ad3f, v47
	v_mul_f32_e32 v105, 0xbf7e222b, v66
	v_add_f32_e32 v10, v11, v10
	v_mov_b32_e32 v11, v105
	;; [unrolled: 4-line block ×3, first 2 shown]
	v_fmac_f32_e32 v11, 0xbf788fa5, v51
	v_mul_f32_e32 v107, 0xbf6f5d39, v53
	v_add_f32_e32 v10, v11, v10
	v_fma_f32 v11, v41, s7, -v107
	v_mul_f32_e32 v108, 0x3f29c268, v54
	v_add_f32_e32 v11, v0, v11
	v_fma_f32 v12, v42, s11, -v108
	;; [unrolled: 3-line block ×5, first 2 shown]
	v_mul_f32_e32 v112, 0x3f52af12, v69
	v_add_f32_e32 v12, v12, v11
	v_mov_b32_e32 v11, v112
	v_fmac_f32_e32 v11, 0x3f116cb1, v52
	v_mul_f32_e32 v113, 0x3f52af12, v65
	v_add_f32_e32 v11, v11, v10
	v_fma_f32 v10, v50, s6, -v113
	v_fmac_f32_e32 v77, 0xbf7e222b, v55
	v_add_f32_e32 v10, v10, v12
	v_add_f32_e32 v12, v1, v77
	v_fmac_f32_e32 v19, 0xbe750f2a, v59
	v_fma_f32 v13, v41, s14, -v22
	v_add_f32_e32 v12, v19, v12
	v_fmac_f32_e32 v78, 0x3f6f5d39, v61
	v_add_f32_e32 v13, v0, v13
	v_fma_f32 v18, v42, s10, -v25
	v_add_f32_e32 v12, v78, v12
	v_fmac_f32_e32 v79, 0x3eedf032, v66
	v_add_f32_e32 v13, v18, v13
	;; [unrolled: 4-line block ×3, first 2 shown]
	v_fma_f32 v18, v46, s15, -v26
	v_add_f32_e32 v12, v20, v12
	v_add_f32_e32 v13, v18, v13
	v_fma_f32 v14, v48, s6, -v14
	v_fmac_f32_e32 v21, 0xbf29c268, v69
	v_add_f32_e32 v14, v14, v13
	v_add_f32_e32 v13, v21, v12
	v_fma_f32 v12, v50, s11, -v17
	v_add_f32_e32 v12, v12, v14
	v_mul_f32_e32 v14, 0x3f116cb1, v43
	v_add_f32_e32 v14, v62, v14
	v_mul_f32_e32 v17, 0xbeb58ec6, v45
	v_mul_f32_e32 v18, 0x3f116cb1, v41
	v_add_f32_e32 v17, v67, v17
	v_add_f32_e32 v14, v1, v14
	v_sub_f32_e32 v18, v18, v57
	v_mul_f32_e32 v19, 0xbeb58ec6, v42
	v_add_f32_e32 v14, v17, v14
	v_mul_f32_e32 v17, 0xbf788fa5, v47
	v_sub_f32_e32 v19, v19, v60
	v_add_f32_e32 v18, v0, v18
	v_add_f32_e32 v17, v71, v17
	;; [unrolled: 1-line block ×3, first 2 shown]
	v_mul_f32_e32 v19, 0xbf788fa5, v44
	v_add_f32_e32 v14, v17, v14
	v_mul_f32_e32 v17, 0xbf3f9e67, v49
	v_sub_f32_e32 v19, v19, v64
	v_add_f32_e32 v17, v73, v17
	v_add_f32_e32 v18, v19, v18
	v_mul_f32_e32 v19, 0xbf3f9e67, v46
	v_add_f32_e32 v14, v17, v14
	v_mul_f32_e32 v17, 0x3df6dbef, v51
	v_sub_f32_e32 v19, v19, v68
	v_add_f32_e32 v17, v75, v17
	v_add_f32_e32 v18, v19, v18
	;; [unrolled: 6-line block ×3, first 2 shown]
	v_mul_f32_e32 v18, 0x3f62ad3f, v50
	v_sub_f32_e32 v20, v18, v74
	v_add_f32_e32 v18, v17, v14
	v_mul_f32_e32 v14, 0xbeedf032, v55
	v_add_f32_e32 v17, v20, v19
	v_mov_b32_e32 v19, v14
	v_mul_f32_e32 v55, 0xbf52af12, v59
	v_fmac_f32_e32 v19, 0x3f62ad3f, v43
	v_mov_b32_e32 v20, v55
	v_add_f32_e32 v19, v1, v19
	v_fmac_f32_e32 v20, 0x3f116cb1, v45
	v_mul_f32_e32 v57, 0xbf7e222b, v61
	v_add_f32_e32 v19, v20, v19
	v_mov_b32_e32 v20, v57
	v_fmac_f32_e32 v20, 0x3df6dbef, v47
	v_mul_f32_e32 v59, 0xbf6f5d39, v66
	v_add_f32_e32 v19, v20, v19
	v_mov_b32_e32 v20, v59
	v_fmac_f32_e32 v20, 0xbeb58ec6, v49
	v_mul_f32_e32 v60, 0xbf29c268, v70
	v_add_f32_e32 v19, v20, v19
	v_mov_b32_e32 v20, v60
	v_fmac_f32_e32 v20, 0xbf3f9e67, v51
	v_mul_f32_e32 v53, 0xbeedf032, v53
	v_add_f32_e32 v19, v20, v19
	v_fma_f32 v20, v41, s15, -v53
	v_mul_f32_e32 v54, 0xbf52af12, v54
	v_add_f32_e32 v20, v0, v20
	v_fma_f32 v21, v42, s6, -v54
	;; [unrolled: 3-line block ×5, first 2 shown]
	v_mul_f32_e32 v62, 0xbe750f2a, v69
	v_add_f32_e32 v21, v21, v20
	v_mov_b32_e32 v20, v62
	v_fmac_f32_e32 v20, 0xbf788fa5, v52
	v_mul_f32_e32 v63, 0xbe750f2a, v65
	v_add_f32_e32 v20, v20, v19
	v_fma_f32 v19, v50, s10, -v63
	v_add_f32_e32 v19, v19, v21
	v_fma_f32 v21, v43, s10, -v24
	;; [unrolled: 2-line block ×6, first 2 shown]
	v_fmac_f32_e32 v83, 0xbf788fa5, v41
	v_add_f32_e32 v21, v22, v21
	v_add_f32_e32 v22, v0, v83
	v_fmac_f32_e32 v84, 0x3f62ad3f, v42
	v_add_f32_e32 v22, v84, v22
	v_fmac_f32_e32 v85, 0xbf3f9e67, v44
	;; [unrolled: 2-line block ×4, first 2 shown]
	v_add_f32_e32 v23, v87, v22
	v_fma_f32 v22, v52, s14, -v88
	v_fmac_f32_e32 v89, 0x3df6dbef, v50
	v_add_f32_e32 v22, v22, v21
	v_add_f32_e32 v21, v89, v23
	v_fma_f32 v23, v43, s11, -v90
	v_fma_f32 v25, v43, s7, -v102
	v_add_f32_e32 v23, v1, v23
	v_fma_f32 v24, v45, s14, -v91
	v_add_f32_e32 v25, v1, v25
	v_fma_f32 v26, v45, s11, -v103
	v_add_f32_e32 v23, v24, v23
	v_fma_f32 v24, v47, s6, -v92
	v_add_f32_e32 v25, v26, v25
	v_fma_f32 v26, v47, s15, -v104
	v_add_f32_e32 v23, v24, v23
	v_fma_f32 v24, v49, s10, -v93
	v_add_f32_e32 v25, v26, v25
	v_fma_f32 v26, v49, s14, -v105
	v_fma_f32 v14, v43, s15, -v14
	v_add_f32_e32 v23, v24, v23
	v_fma_f32 v24, v51, s15, -v94
	v_add_f32_e32 v25, v26, v25
	;; [unrolled: 2-line block ×4, first 2 shown]
	v_fma_f32 v24, v52, s7, -v100
	v_fmac_f32_e32 v95, 0xbf3f9e67, v41
	v_add_f32_e32 v25, v26, v25
	v_fma_f32 v26, v52, s6, -v112
	v_fmac_f32_e32 v107, 0xbeb58ec6, v41
	v_add_f32_e32 v1, v14, v1
	v_fma_f32 v14, v47, s14, -v57
	v_fmac_f32_e32 v53, 0x3f62ad3f, v41
	v_add_f32_e32 v24, v24, v23
	v_add_f32_e32 v23, v0, v95
	v_fmac_f32_e32 v96, 0x3df6dbef, v42
	v_add_f32_e32 v26, v26, v25
	v_add_f32_e32 v25, v0, v107
	v_fmac_f32_e32 v108, 0xbf3f9e67, v42
	v_add_f32_e32 v1, v14, v1
	v_fma_f32 v14, v49, s7, -v59
	v_add_f32_e32 v0, v0, v53
	v_fmac_f32_e32 v54, 0x3f116cb1, v42
	v_add_f32_e32 v23, v96, v23
	v_fmac_f32_e32 v97, 0x3f116cb1, v44
	v_add_f32_e32 v25, v108, v25
	v_fmac_f32_e32 v109, 0x3f62ad3f, v44
	v_add_f32_e32 v1, v14, v1
	v_fma_f32 v14, v51, s11, -v60
	v_add_f32_e32 v0, v54, v0
	v_fmac_f32_e32 v56, 0x3df6dbef, v44
	v_add_f32_e32 v23, v97, v23
	v_fmac_f32_e32 v98, 0xbf788fa5, v46
	;; [unrolled: 8-line block ×3, first 2 shown]
	v_add_f32_e32 v25, v110, v25
	v_fmac_f32_e32 v111, 0xbf788fa5, v48
	v_add_f32_e32 v1, v14, v1
	v_add_f32_e32 v0, v58, v0
	v_fmac_f32_e32 v61, 0xbf3f9e67, v48
	v_mul_u32_u24_e32 v14, 0x60, v28
	v_add_f32_e32 v23, v99, v23
	v_fmac_f32_e32 v101, 0xbeb58ec6, v50
	v_add_f32_e32 v25, v111, v25
	v_fmac_f32_e32 v113, 0x3f116cb1, v50
	;; [unrolled: 2-line block ×3, first 2 shown]
	v_add3_u32 v14, v40, v14, v37
	v_add_f32_e32 v23, v101, v23
	v_add_f32_e32 v25, v113, v25
	;; [unrolled: 1-line block ×3, first 2 shown]
	ds_write2_b64 v14, v[4:5], v[19:20] offset1:1
	ds_write2_b64 v14, v[17:18], v[12:13] offset0:2 offset1:3
	ds_write2_b64 v14, v[10:11], v[8:9] offset0:4 offset1:5
	ds_write2_b64 v14, v[6:7], v[21:22] offset0:6 offset1:7
	ds_write2_b64 v14, v[23:24], v[25:26] offset0:8 offset1:9
	ds_write2_b64 v14, v[15:16], v[2:3] offset0:10 offset1:11
	ds_write_b64 v14, v[0:1] offset:96
.LBB0_21:
	s_or_b64 exec, exec, s[4:5]
	v_add_u32_e32 v20, -13, v28
	v_cndmask_b32_e64 v27, v20, v28, s[0:1]
	v_mul_i32_i24_e32 v0, 10, v27
	v_mov_b32_e32 v1, 0
	v_lshlrev_b64 v[0:1], 3, v[0:1]
	v_mov_b32_e32 v4, s9
	v_add_co_u32_e64 v0, s[2:3], s8, v0
	v_addc_co_u32_e64 v1, s[2:3], v4, v1, s[2:3]
	s_waitcnt lgkmcnt(0)
	; wave barrier
	s_waitcnt lgkmcnt(0)
	global_load_dwordx4 v[4:7], v[0:1], off
	global_load_dwordx4 v[8:11], v[0:1], off offset:16
	global_load_dwordx4 v[12:15], v[0:1], off offset:32
	;; [unrolled: 1-line block ×4, first 2 shown]
	ds_read2_b64 v[40:43], v29 offset0:26 offset1:52
	ds_read2_b64 v[44:47], v29 offset0:78 offset1:104
	ds_read2_b32 v[0:1], v39 offset0:4 offset1:5
	ds_read2_b64 v[48:51], v29 offset0:156 offset1:182
	ds_read2_b64 v[52:55], v29 offset0:208 offset1:234
	ds_read_b64 v[25:26], v38
	ds_read_b64 v[56:57], v29 offset:2080
	s_mov_b32 s2, 0x3f575c64
	s_mov_b32 s3, 0x3ed4b147
	;; [unrolled: 1-line block ×5, first 2 shown]
	s_waitcnt lgkmcnt(0)
	; wave barrier
	s_waitcnt vmcnt(4) lgkmcnt(0)
	v_mul_f32_e32 v39, v5, v41
	v_mul_f32_e32 v5, v5, v40
	;; [unrolled: 1-line block ×4, first 2 shown]
	s_waitcnt vmcnt(3)
	v_mul_f32_e32 v59, v9, v45
	v_mul_f32_e32 v9, v9, v44
	;; [unrolled: 1-line block ×4, first 2 shown]
	s_waitcnt vmcnt(2)
	v_mul_f32_e32 v61, v1, v13
	v_mul_f32_e32 v13, v13, v0
	s_waitcnt vmcnt(1)
	v_mul_f32_e32 v63, v51, v17
	v_mul_f32_e32 v17, v50, v17
	;; [unrolled: 1-line block ×4, first 2 shown]
	s_waitcnt vmcnt(0)
	v_mul_f32_e32 v66, v57, v24
	v_mul_f32_e32 v24, v56, v24
	v_fma_f32 v39, v4, v40, -v39
	v_fmac_f32_e32 v5, v4, v41
	v_fma_f32 v40, v6, v42, -v58
	v_fmac_f32_e32 v7, v6, v43
	;; [unrolled: 2-line block ×7, first 2 shown]
	v_fmac_f32_e32 v24, v57, v23
	v_add_f32_e32 v16, v39, v25
	v_add_f32_e32 v18, v5, v26
	v_fma_f32 v4, v56, v23, -v66
	v_add_f32_e32 v23, v5, v24
	v_sub_f32_e32 v41, v5, v24
	v_add_f32_e32 v5, v16, v40
	v_add_f32_e32 v16, v18, v7
	;; [unrolled: 1-line block ×4, first 2 shown]
	v_mul_f32_e32 v62, v49, v15
	v_mul_f32_e32 v15, v48, v15
	v_add_f32_e32 v5, v5, v8
	v_add_f32_e32 v16, v16, v11
	v_fma_f32 v1, v48, v14, -v62
	v_fmac_f32_e32 v15, v49, v14
	v_add_f32_e32 v5, v5, v0
	v_add_f32_e32 v16, v16, v13
	v_mul_f32_e32 v65, v55, v22
	v_mul_f32_e32 v22, v54, v22
	v_add_f32_e32 v5, v5, v1
	v_add_f32_e32 v16, v16, v15
	v_fma_f32 v14, v54, v21, -v65
	v_fmac_f32_e32 v22, v55, v21
	v_add_f32_e32 v21, v39, v4
	v_sub_f32_e32 v39, v39, v4
	v_add_f32_e32 v5, v5, v10
	v_add_f32_e32 v16, v16, v17
	v_mul_f32_e32 v42, 0xbf0a6770, v39
	v_add_f32_e32 v5, v5, v12
	v_add_f32_e32 v16, v16, v19
	v_mul_f32_e32 v45, 0xbf68dda4, v39
	v_mul_f32_e32 v49, 0xbf7d64f0, v39
	v_mul_f32_e32 v53, 0xbf4178ce, v39
	v_mul_f32_e32 v39, 0xbe903f40, v39
	v_mov_b32_e32 v44, v42
	v_add_f32_e32 v5, v5, v14
	v_add_f32_e32 v16, v16, v22
	v_mov_b32_e32 v46, v45
	v_mov_b32_e32 v50, v49
	;; [unrolled: 1-line block ×4, first 2 shown]
	v_mul_f32_e32 v18, 0xbf0a6770, v41
	v_fmac_f32_e32 v44, 0x3f575c64, v23
	v_add_f32_e32 v4, v5, v4
	v_add_f32_e32 v5, v16, v24
	v_fma_f32 v16, v23, s2, -v42
	v_mul_f32_e32 v24, 0xbf68dda4, v41
	v_fmac_f32_e32 v46, 0x3ed4b147, v23
	v_fma_f32 v45, v23, s3, -v45
	v_mul_f32_e32 v47, 0xbf7d64f0, v41
	v_fmac_f32_e32 v50, 0xbe11bafb, v23
	;; [unrolled: 3-line block ×4, first 2 shown]
	v_fma_f32 v23, v23, s6, -v39
	v_fma_f32 v43, v21, s2, -v18
	v_fmac_f32_e32 v18, 0x3f575c64, v21
	v_add_f32_e32 v44, v44, v26
	v_add_f32_e32 v16, v16, v26
	v_fma_f32 v42, v21, s3, -v24
	v_add_f32_e32 v46, v46, v26
	v_fmac_f32_e32 v24, 0x3ed4b147, v21
	v_add_f32_e32 v45, v45, v26
	v_fma_f32 v48, v21, s4, -v47
	v_add_f32_e32 v50, v50, v26
	v_fmac_f32_e32 v47, 0xbe11bafb, v21
	;; [unrolled: 4-line block ×4, first 2 shown]
	v_add_f32_e32 v23, v23, v26
	v_add_f32_e32 v26, v7, v22
	v_sub_f32_e32 v7, v7, v22
	v_add_f32_e32 v43, v43, v25
	v_add_f32_e32 v18, v18, v25
	;; [unrolled: 1-line block ×11, first 2 shown]
	v_sub_f32_e32 v14, v40, v14
	v_mul_f32_e32 v22, 0xbf68dda4, v7
	v_fma_f32 v39, v25, s3, -v22
	v_mul_f32_e32 v40, 0xbf68dda4, v14
	v_fmac_f32_e32 v22, 0x3ed4b147, v25
	v_add_f32_e32 v18, v22, v18
	v_fma_f32 v22, v26, s3, -v40
	v_add_f32_e32 v16, v22, v16
	v_mul_f32_e32 v22, 0xbf4178ce, v7
	v_mov_b32_e32 v41, v40
	v_fma_f32 v40, v25, s5, -v22
	v_add_f32_e32 v40, v40, v42
	v_mul_f32_e32 v42, 0xbf4178ce, v14
	v_fmac_f32_e32 v22, 0xbf27a4f4, v25
	v_add_f32_e32 v39, v39, v43
	v_fmac_f32_e32 v41, 0x3ed4b147, v26
	v_mov_b32_e32 v43, v42
	v_add_f32_e32 v22, v22, v24
	v_fma_f32 v24, v26, s5, -v42
	v_mul_f32_e32 v42, 0x3e903f40, v7
	v_add_f32_e32 v41, v41, v44
	v_fmac_f32_e32 v43, 0xbf27a4f4, v26
	v_add_f32_e32 v24, v24, v45
	v_fma_f32 v44, v25, s6, -v42
	v_mul_f32_e32 v45, 0x3e903f40, v14
	v_fmac_f32_e32 v42, 0xbf75a155, v25
	v_add_f32_e32 v43, v43, v46
	v_mov_b32_e32 v46, v45
	v_add_f32_e32 v42, v42, v47
	v_fma_f32 v45, v26, s6, -v45
	v_mul_f32_e32 v47, 0x3f7d64f0, v7
	v_add_f32_e32 v44, v44, v48
	v_add_f32_e32 v45, v45, v49
	v_fma_f32 v48, v25, s4, -v47
	v_mul_f32_e32 v49, 0x3f7d64f0, v14
	v_mul_f32_e32 v14, 0x3f0a6770, v14
	v_add_f32_e32 v48, v48, v52
	v_fmac_f32_e32 v47, 0xbe11bafb, v25
	v_mul_f32_e32 v7, 0x3f0a6770, v7
	v_mov_b32_e32 v52, v14
	v_fma_f32 v14, v26, s2, -v14
	v_add_f32_e32 v47, v47, v51
	v_fma_f32 v51, v25, s2, -v7
	v_fmac_f32_e32 v7, 0x3f575c64, v25
	v_add_f32_e32 v14, v14, v23
	v_add_f32_e32 v23, v9, v19
	v_sub_f32_e32 v9, v9, v19
	v_add_f32_e32 v7, v7, v21
	v_add_f32_e32 v21, v6, v12
	v_sub_f32_e32 v6, v6, v12
	v_mul_f32_e32 v12, 0xbf7d64f0, v9
	v_fma_f32 v19, v21, s4, -v12
	v_mul_f32_e32 v25, 0xbf7d64f0, v6
	v_fmac_f32_e32 v12, 0xbe11bafb, v21
	v_fmac_f32_e32 v46, 0xbf75a155, v26
	v_add_f32_e32 v12, v12, v18
	v_fma_f32 v18, v23, s4, -v25
	v_add_f32_e32 v46, v46, v50
	v_mov_b32_e32 v50, v49
	v_add_f32_e32 v16, v18, v16
	v_mul_f32_e32 v18, 0x3e903f40, v9
	v_fmac_f32_e32 v50, 0xbe11bafb, v26
	v_fma_f32 v49, v26, s4, -v49
	v_fmac_f32_e32 v52, 0x3f575c64, v26
	v_add_f32_e32 v19, v19, v39
	v_mov_b32_e32 v26, v25
	v_fma_f32 v25, v21, s6, -v18
	v_mul_f32_e32 v39, 0x3e903f40, v6
	v_fmac_f32_e32 v18, 0xbf75a155, v21
	v_add_f32_e32 v18, v18, v22
	v_fma_f32 v22, v23, s6, -v39
	v_add_f32_e32 v22, v22, v24
	v_mul_f32_e32 v24, 0x3f68dda4, v9
	v_fmac_f32_e32 v26, 0xbe11bafb, v23
	v_add_f32_e32 v25, v25, v40
	v_mov_b32_e32 v40, v39
	v_fma_f32 v39, v21, s3, -v24
	v_fmac_f32_e32 v24, 0x3ed4b147, v21
	v_add_f32_e32 v26, v26, v41
	v_fmac_f32_e32 v40, 0xbf75a155, v23
	v_mul_f32_e32 v41, 0x3f68dda4, v6
	v_add_f32_e32 v24, v24, v42
	v_mul_f32_e32 v42, 0xbf0a6770, v9
	v_add_f32_e32 v40, v40, v43
	v_add_f32_e32 v39, v39, v44
	v_mov_b32_e32 v43, v41
	v_fma_f32 v41, v23, s3, -v41
	v_fma_f32 v44, v21, s2, -v42
	v_fmac_f32_e32 v42, 0x3f575c64, v21
	v_mul_f32_e32 v9, 0xbf4178ce, v9
	v_add_f32_e32 v41, v41, v45
	v_mul_f32_e32 v45, 0xbf0a6770, v6
	v_add_f32_e32 v42, v42, v47
	v_fma_f32 v47, v21, s5, -v9
	v_mul_f32_e32 v6, 0xbf4178ce, v6
	v_fmac_f32_e32 v9, 0xbf27a4f4, v21
	v_add_f32_e32 v44, v44, v48
	v_mov_b32_e32 v48, v6
	v_add_f32_e32 v7, v9, v7
	v_fma_f32 v6, v23, s5, -v6
	v_add_f32_e32 v9, v8, v10
	v_sub_f32_e32 v8, v8, v10
	v_sub_f32_e32 v10, v11, v17
	v_add_f32_e32 v6, v6, v14
	v_add_f32_e32 v14, v11, v17
	v_mul_f32_e32 v11, 0xbf4178ce, v10
	v_fma_f32 v17, v9, s5, -v11
	v_add_f32_e32 v17, v17, v19
	v_mul_f32_e32 v19, 0xbf4178ce, v8
	v_fmac_f32_e32 v11, 0xbf27a4f4, v9
	v_fmac_f32_e32 v43, 0x3ed4b147, v23
	v_add_f32_e32 v11, v11, v12
	v_fma_f32 v12, v14, s5, -v19
	v_add_f32_e32 v43, v43, v46
	v_mov_b32_e32 v46, v45
	v_add_f32_e32 v12, v12, v16
	v_mul_f32_e32 v16, 0x3f7d64f0, v10
	v_fmac_f32_e32 v46, 0x3f575c64, v23
	v_fma_f32 v45, v23, s2, -v45
	v_fmac_f32_e32 v48, 0xbf27a4f4, v23
	v_mov_b32_e32 v21, v19
	v_fma_f32 v19, v9, s4, -v16
	v_mul_f32_e32 v23, 0x3f7d64f0, v8
	v_fmac_f32_e32 v16, 0xbe11bafb, v9
	v_add_f32_e32 v16, v16, v18
	v_fma_f32 v18, v14, s4, -v23
	v_fmac_f32_e32 v21, 0xbf27a4f4, v14
	v_add_f32_e32 v18, v18, v22
	v_mul_f32_e32 v22, 0xbf0a6770, v10
	v_add_f32_e32 v21, v21, v26
	v_add_f32_e32 v19, v19, v25
	v_mov_b32_e32 v25, v23
	v_fma_f32 v23, v9, s2, -v22
	v_mul_f32_e32 v26, 0xbf0a6770, v8
	v_fmac_f32_e32 v22, 0x3f575c64, v9
	v_fmac_f32_e32 v25, 0xbe11bafb, v14
	v_add_f32_e32 v23, v23, v39
	v_mov_b32_e32 v39, v26
	v_add_f32_e32 v22, v22, v24
	v_fma_f32 v24, v14, s2, -v26
	v_mul_f32_e32 v26, 0xbe903f40, v10
	v_add_f32_e32 v50, v50, v54
	v_add_f32_e32 v51, v51, v55
	v_add_f32_e32 v25, v25, v40
	v_fma_f32 v40, v9, s6, -v26
	v_fmac_f32_e32 v26, 0xbf75a155, v9
	v_mul_f32_e32 v10, 0x3f68dda4, v10
	v_add_f32_e32 v49, v49, v53
	v_add_f32_e32 v46, v46, v50
	;; [unrolled: 1-line block ×4, first 2 shown]
	v_mul_f32_e32 v41, 0xbe903f40, v8
	v_add_f32_e32 v26, v26, v42
	v_fma_f32 v42, v9, s3, -v10
	v_mul_f32_e32 v8, 0x3f68dda4, v8
	v_sub_f32_e32 v50, v13, v15
	v_add_f32_e32 v52, v52, v56
	v_add_f32_e32 v45, v45, v49
	v_fmac_f32_e32 v39, 0x3f575c64, v14
	v_add_f32_e32 v40, v40, v44
	v_add_f32_e32 v42, v42, v47
	v_mov_b32_e32 v44, v8
	v_add_f32_e32 v47, v0, v1
	v_sub_f32_e32 v49, v0, v1
	v_mul_f32_e32 v0, 0xbe903f40, v50
	v_add_f32_e32 v48, v48, v52
	v_add_f32_e32 v39, v39, v43
	v_mov_b32_e32 v43, v41
	v_fma_f32 v41, v14, s6, -v41
	v_fmac_f32_e32 v44, 0x3ed4b147, v14
	v_fmac_f32_e32 v10, 0x3ed4b147, v9
	v_fma_f32 v1, v47, s6, -v0
	v_fmac_f32_e32 v0, 0xbf75a155, v47
	v_fmac_f32_e32 v43, 0xbf75a155, v14
	v_add_f32_e32 v41, v41, v45
	v_add_f32_e32 v44, v44, v48
	;; [unrolled: 1-line block ×3, first 2 shown]
	v_fma_f32 v7, v14, s3, -v8
	v_add_f32_e32 v48, v13, v15
	v_add_f32_e32 v0, v0, v11
	v_mul_f32_e32 v10, 0x3f0a6770, v50
	v_mul_f32_e32 v11, 0x3f0a6770, v49
	v_add_f32_e32 v43, v43, v46
	v_add_f32_e32 v46, v7, v6
	;; [unrolled: 1-line block ×3, first 2 shown]
	v_mul_f32_e32 v1, 0xbe903f40, v49
	v_fma_f32 v8, v47, s2, -v10
	v_mov_b32_e32 v9, v11
	v_fma_f32 v11, v48, s2, -v11
	v_mul_f32_e32 v15, 0xbf4178ce, v49
	v_mov_b32_e32 v7, v1
	v_fma_f32 v1, v48, s6, -v1
	v_add_f32_e32 v8, v8, v19
	v_fmac_f32_e32 v9, 0x3f575c64, v48
	v_fmac_f32_e32 v10, 0x3f575c64, v47
	v_add_f32_e32 v11, v11, v18
	v_mul_f32_e32 v14, 0xbf4178ce, v50
	v_mov_b32_e32 v13, v15
	v_fma_f32 v15, v48, s5, -v15
	v_mul_f32_e32 v18, 0x3f68dda4, v50
	v_mul_f32_e32 v19, 0x3f68dda4, v49
	v_add_f32_e32 v1, v1, v12
	v_add_f32_e32 v9, v9, v25
	;; [unrolled: 1-line block ×3, first 2 shown]
	v_fma_f32 v12, v47, s5, -v14
	v_fmac_f32_e32 v14, 0xbf27a4f4, v47
	v_add_f32_e32 v15, v15, v24
	v_fma_f32 v16, v47, s3, -v18
	v_mov_b32_e32 v17, v19
	v_fma_f32 v19, v48, s3, -v19
	v_mul_f32_e32 v24, 0xbf7d64f0, v49
	v_mov_b32_e32 v25, 0x478
	v_cmp_lt_u32_e64 s[2:3], 12, v28
	v_fmac_f32_e32 v7, 0xbf75a155, v48
	v_add_f32_e32 v12, v12, v23
	v_add_f32_e32 v14, v14, v22
	v_fmac_f32_e32 v18, 0x3ed4b147, v47
	v_mul_f32_e32 v23, 0xbf7d64f0, v50
	v_mov_b32_e32 v22, v24
	v_cndmask_b32_e64 v25, 0, v25, s[2:3]
	v_add_f32_e32 v7, v7, v21
	v_fmac_f32_e32 v13, 0xbf27a4f4, v48
	v_fmac_f32_e32 v17, 0x3ed4b147, v48
	v_add_f32_e32 v18, v18, v26
	v_fma_f32 v21, v47, s4, -v23
	v_fmac_f32_e32 v22, 0xbe11bafb, v48
	v_fmac_f32_e32 v23, 0xbe11bafb, v47
	v_fma_f32 v24, v48, s4, -v24
	v_add_u32_e32 v25, 0, v25
	v_lshlrev_b32_e32 v26, 3, v27
	v_add_f32_e32 v13, v13, v39
	v_add_f32_e32 v16, v16, v40
	;; [unrolled: 1-line block ×8, first 2 shown]
	v_add3_u32 v25, v25, v26, v37
	ds_write2_b64 v25, v[4:5], v[6:7] offset1:13
	ds_write2_b64 v25, v[8:9], v[12:13] offset0:26 offset1:39
	ds_write2_b64 v25, v[16:17], v[21:22] offset0:52 offset1:65
	;; [unrolled: 1-line block ×4, first 2 shown]
	ds_write_b64 v25, v[0:1] offset:1040
	s_waitcnt lgkmcnt(0)
	; wave barrier
	s_waitcnt lgkmcnt(0)
	ds_read2_b64 v[12:15], v29 offset0:143 offset1:169
	ds_read2_b64 v[4:7], v29 offset0:26 offset1:52
	;; [unrolled: 1-line block ×4, first 2 shown]
	ds_read_b64 v[21:22], v38
	ds_read_b64 v[23:24], v29 offset:1976
	s_and_saveexec_b64 s[2:3], s[0:1]
	s_cbranch_execz .LBB0_23
; %bb.22:
	v_add_u32_e32 v0, 0x400, v29
	ds_read2_b64 v[0:3], v0 offset0:2 offset1:145
	v_add_u32_e32 v20, 0x82, v28
.LBB0_23:
	s_or_b64 exec, exec, s[2:3]
	v_mov_b32_e32 v27, s9
	v_add_co_u32_e64 v25, s[2:3], s8, v32
	v_addc_co_u32_e64 v26, s[2:3], v27, v33, s[2:3]
	v_add_co_u32_e64 v32, s[2:3], s8, v34
	v_addc_co_u32_e64 v33, s[2:3], v27, v35, s[2:3]
	global_load_dwordx2 v[25:26], v[25:26], off offset:1040
	s_nop 0
	global_load_dwordx2 v[34:35], v[32:33], off offset:1248
	global_load_dwordx2 v[37:38], v[32:33], off offset:1456
	;; [unrolled: 1-line block ×4, first 2 shown]
	s_waitcnt lgkmcnt(0)
	; wave barrier
	s_waitcnt vmcnt(3) lgkmcnt(0)
	v_mul_f32_e32 v32, v35, v15
	v_mul_f32_e32 v33, v35, v14
	;; [unrolled: 1-line block ×4, first 2 shown]
	s_waitcnt vmcnt(2)
	v_mul_f32_e32 v35, v38, v17
	v_mul_f32_e32 v38, v38, v16
	s_waitcnt vmcnt(1)
	v_mul_f32_e32 v43, v40, v19
	v_mul_f32_e32 v40, v40, v18
	;; [unrolled: 3-line block ×3, first 2 shown]
	v_fma_f32 v12, v25, v12, -v27
	v_fmac_f32_e32 v26, v25, v13
	v_fma_f32 v14, v34, v14, -v32
	v_fmac_f32_e32 v33, v34, v15
	;; [unrolled: 2-line block ×5, first 2 shown]
	v_sub_f32_e32 v12, v21, v12
	v_sub_f32_e32 v13, v22, v26
	;; [unrolled: 1-line block ×10, first 2 shown]
	v_fma_f32 v21, v21, 2.0, -v12
	v_fma_f32 v22, v22, 2.0, -v13
	v_fma_f32 v4, v4, 2.0, -v14
	v_fma_f32 v5, v5, 2.0, -v15
	v_fma_f32 v6, v6, 2.0, -v16
	v_fma_f32 v7, v7, 2.0, -v17
	v_fma_f32 v8, v8, 2.0, -v18
	v_fma_f32 v9, v9, 2.0, -v19
	v_fma_f32 v10, v10, 2.0, -v23
	v_fma_f32 v11, v11, 2.0, -v24
	ds_write2_b64 v29, v[14:15], v[16:17] offset0:169 offset1:195
	ds_write2_b64 v29, v[21:22], v[4:5] offset1:26
	ds_write2_b64 v29, v[6:7], v[8:9] offset0:52 offset1:78
	ds_write2_b64 v29, v[10:11], v[12:13] offset0:104 offset1:143
	;; [unrolled: 1-line block ×3, first 2 shown]
	s_and_saveexec_b64 s[2:3], s[0:1]
	s_cbranch_execz .LBB0_25
; %bb.24:
	v_mov_b32_e32 v21, 0
	v_lshlrev_b64 v[4:5], 3, v[20:21]
	v_mov_b32_e32 v6, s9
	v_add_co_u32_e64 v4, s[0:1], s8, v4
	v_addc_co_u32_e64 v5, s[0:1], v6, v5, s[0:1]
	global_load_dwordx2 v[4:5], v[4:5], off offset:1040
	s_waitcnt vmcnt(0)
	v_mul_f32_e32 v6, v2, v5
	v_mul_f32_e32 v5, v3, v5
	v_fmac_f32_e32 v6, v3, v4
	v_fma_f32 v2, v2, v4, -v5
	v_sub_f32_e32 v3, v1, v6
	v_sub_f32_e32 v2, v0, v2
	v_fma_f32 v1, v1, 2.0, -v3
	v_fma_f32 v0, v0, 2.0, -v2
	v_add_u32_e32 v4, 0x400, v29
	ds_write2_b64 v4, v[0:1], v[2:3] offset0:2 offset1:145
.LBB0_25:
	s_or_b64 exec, exec, s[2:3]
	s_waitcnt lgkmcnt(0)
	; wave barrier
	s_waitcnt lgkmcnt(0)
	s_and_saveexec_b64 s[0:1], vcc
	s_cbranch_execz .LBB0_27
; %bb.26:
	v_lshl_add_u32 v6, v28, 3, v36
	v_mov_b32_e32 v29, 0
	ds_read2_b64 v[0:3], v6 offset1:26
	v_mov_b32_e32 v4, s13
	v_add_co_u32_e32 v7, vcc, s12, v30
	v_addc_co_u32_e32 v8, vcc, v4, v31, vcc
	v_lshlrev_b64 v[4:5], 3, v[28:29]
	v_add_co_u32_e32 v4, vcc, v7, v4
	v_addc_co_u32_e32 v5, vcc, v8, v5, vcc
	s_waitcnt lgkmcnt(0)
	global_store_dwordx2 v[4:5], v[0:1], off
	v_add_u32_e32 v0, 26, v28
	v_mov_b32_e32 v1, v29
	v_lshlrev_b64 v[0:1], 3, v[0:1]
	v_add_u32_e32 v4, 52, v28
	v_add_co_u32_e32 v0, vcc, v7, v0
	v_addc_co_u32_e32 v1, vcc, v8, v1, vcc
	global_store_dwordx2 v[0:1], v[2:3], off
	v_mov_b32_e32 v5, v29
	ds_read2_b64 v[0:3], v6 offset0:52 offset1:78
	v_lshlrev_b64 v[4:5], 3, v[4:5]
	v_add_co_u32_e32 v4, vcc, v7, v4
	v_addc_co_u32_e32 v5, vcc, v8, v5, vcc
	s_waitcnt lgkmcnt(0)
	global_store_dwordx2 v[4:5], v[0:1], off
	v_add_u32_e32 v0, 0x4e, v28
	v_mov_b32_e32 v1, v29
	v_lshlrev_b64 v[0:1], 3, v[0:1]
	v_add_u32_e32 v4, 0x68, v28
	v_add_co_u32_e32 v0, vcc, v7, v0
	v_addc_co_u32_e32 v1, vcc, v8, v1, vcc
	global_store_dwordx2 v[0:1], v[2:3], off
	v_mov_b32_e32 v5, v29
	ds_read2_b64 v[0:3], v6 offset0:104 offset1:130
	;; [unrolled: 14-line block ×4, first 2 shown]
	v_lshlrev_b64 v[4:5], 3, v[4:5]
	v_add_co_u32_e32 v4, vcc, v7, v4
	v_addc_co_u32_e32 v5, vcc, v8, v5, vcc
	s_waitcnt lgkmcnt(0)
	global_store_dwordx2 v[4:5], v[0:1], off
	v_add_u32_e32 v0, 0xea, v28
	v_mov_b32_e32 v1, v29
	v_lshlrev_b64 v[0:1], 3, v[0:1]
	v_add_u32_e32 v28, 0x104, v28
	v_add_co_u32_e32 v0, vcc, v7, v0
	v_addc_co_u32_e32 v1, vcc, v8, v1, vcc
	global_store_dwordx2 v[0:1], v[2:3], off
	ds_read_b64 v[0:1], v6 offset:2080
	v_lshlrev_b64 v[2:3], 3, v[28:29]
	v_add_co_u32_e32 v2, vcc, v7, v2
	v_addc_co_u32_e32 v3, vcc, v8, v3, vcc
	s_waitcnt lgkmcnt(0)
	global_store_dwordx2 v[2:3], v[0:1], off
.LBB0_27:
	s_endpgm
	.section	.rodata,"a",@progbits
	.p2align	6, 0x0
	.amdhsa_kernel fft_rtc_fwd_len286_factors_13_11_2_wgs_52_tpt_26_sp_ip_CI_unitstride_sbrr_C2R_dirReg
		.amdhsa_group_segment_fixed_size 0
		.amdhsa_private_segment_fixed_size 0
		.amdhsa_kernarg_size 88
		.amdhsa_user_sgpr_count 6
		.amdhsa_user_sgpr_private_segment_buffer 1
		.amdhsa_user_sgpr_dispatch_ptr 0
		.amdhsa_user_sgpr_queue_ptr 0
		.amdhsa_user_sgpr_kernarg_segment_ptr 1
		.amdhsa_user_sgpr_dispatch_id 0
		.amdhsa_user_sgpr_flat_scratch_init 0
		.amdhsa_user_sgpr_private_segment_size 0
		.amdhsa_uses_dynamic_stack 0
		.amdhsa_system_sgpr_private_segment_wavefront_offset 0
		.amdhsa_system_sgpr_workgroup_id_x 1
		.amdhsa_system_sgpr_workgroup_id_y 0
		.amdhsa_system_sgpr_workgroup_id_z 0
		.amdhsa_system_sgpr_workgroup_info 0
		.amdhsa_system_vgpr_workitem_id 0
		.amdhsa_next_free_vgpr 114
		.amdhsa_next_free_sgpr 22
		.amdhsa_reserve_vcc 1
		.amdhsa_reserve_flat_scratch 0
		.amdhsa_float_round_mode_32 0
		.amdhsa_float_round_mode_16_64 0
		.amdhsa_float_denorm_mode_32 3
		.amdhsa_float_denorm_mode_16_64 3
		.amdhsa_dx10_clamp 1
		.amdhsa_ieee_mode 1
		.amdhsa_fp16_overflow 0
		.amdhsa_exception_fp_ieee_invalid_op 0
		.amdhsa_exception_fp_denorm_src 0
		.amdhsa_exception_fp_ieee_div_zero 0
		.amdhsa_exception_fp_ieee_overflow 0
		.amdhsa_exception_fp_ieee_underflow 0
		.amdhsa_exception_fp_ieee_inexact 0
		.amdhsa_exception_int_div_zero 0
	.end_amdhsa_kernel
	.text
.Lfunc_end0:
	.size	fft_rtc_fwd_len286_factors_13_11_2_wgs_52_tpt_26_sp_ip_CI_unitstride_sbrr_C2R_dirReg, .Lfunc_end0-fft_rtc_fwd_len286_factors_13_11_2_wgs_52_tpt_26_sp_ip_CI_unitstride_sbrr_C2R_dirReg
                                        ; -- End function
	.section	.AMDGPU.csdata,"",@progbits
; Kernel info:
; codeLenInByte = 8740
; NumSgprs: 26
; NumVgprs: 114
; ScratchSize: 0
; MemoryBound: 0
; FloatMode: 240
; IeeeMode: 1
; LDSByteSize: 0 bytes/workgroup (compile time only)
; SGPRBlocks: 3
; VGPRBlocks: 28
; NumSGPRsForWavesPerEU: 26
; NumVGPRsForWavesPerEU: 114
; Occupancy: 2
; WaveLimiterHint : 1
; COMPUTE_PGM_RSRC2:SCRATCH_EN: 0
; COMPUTE_PGM_RSRC2:USER_SGPR: 6
; COMPUTE_PGM_RSRC2:TRAP_HANDLER: 0
; COMPUTE_PGM_RSRC2:TGID_X_EN: 1
; COMPUTE_PGM_RSRC2:TGID_Y_EN: 0
; COMPUTE_PGM_RSRC2:TGID_Z_EN: 0
; COMPUTE_PGM_RSRC2:TIDIG_COMP_CNT: 0
	.type	__hip_cuid_1ed26913dc9b5c4b,@object ; @__hip_cuid_1ed26913dc9b5c4b
	.section	.bss,"aw",@nobits
	.globl	__hip_cuid_1ed26913dc9b5c4b
__hip_cuid_1ed26913dc9b5c4b:
	.byte	0                               ; 0x0
	.size	__hip_cuid_1ed26913dc9b5c4b, 1

	.ident	"AMD clang version 19.0.0git (https://github.com/RadeonOpenCompute/llvm-project roc-6.4.0 25133 c7fe45cf4b819c5991fe208aaa96edf142730f1d)"
	.section	".note.GNU-stack","",@progbits
	.addrsig
	.addrsig_sym __hip_cuid_1ed26913dc9b5c4b
	.amdgpu_metadata
---
amdhsa.kernels:
  - .args:
      - .actual_access:  read_only
        .address_space:  global
        .offset:         0
        .size:           8
        .value_kind:     global_buffer
      - .offset:         8
        .size:           8
        .value_kind:     by_value
      - .actual_access:  read_only
        .address_space:  global
        .offset:         16
        .size:           8
        .value_kind:     global_buffer
      - .actual_access:  read_only
        .address_space:  global
        .offset:         24
        .size:           8
        .value_kind:     global_buffer
      - .offset:         32
        .size:           8
        .value_kind:     by_value
      - .actual_access:  read_only
        .address_space:  global
        .offset:         40
        .size:           8
        .value_kind:     global_buffer
      - .actual_access:  read_only
        .address_space:  global
        .offset:         48
        .size:           8
        .value_kind:     global_buffer
      - .offset:         56
        .size:           4
        .value_kind:     by_value
      - .actual_access:  read_only
        .address_space:  global
        .offset:         64
        .size:           8
        .value_kind:     global_buffer
      - .actual_access:  read_only
        .address_space:  global
        .offset:         72
        .size:           8
        .value_kind:     global_buffer
      - .address_space:  global
        .offset:         80
        .size:           8
        .value_kind:     global_buffer
    .group_segment_fixed_size: 0
    .kernarg_segment_align: 8
    .kernarg_segment_size: 88
    .language:       OpenCL C
    .language_version:
      - 2
      - 0
    .max_flat_workgroup_size: 52
    .name:           fft_rtc_fwd_len286_factors_13_11_2_wgs_52_tpt_26_sp_ip_CI_unitstride_sbrr_C2R_dirReg
    .private_segment_fixed_size: 0
    .sgpr_count:     26
    .sgpr_spill_count: 0
    .symbol:         fft_rtc_fwd_len286_factors_13_11_2_wgs_52_tpt_26_sp_ip_CI_unitstride_sbrr_C2R_dirReg.kd
    .uniform_work_group_size: 1
    .uses_dynamic_stack: false
    .vgpr_count:     114
    .vgpr_spill_count: 0
    .wavefront_size: 64
amdhsa.target:   amdgcn-amd-amdhsa--gfx906
amdhsa.version:
  - 1
  - 2
...

	.end_amdgpu_metadata
